;; amdgpu-corpus repo=ROCm/rocm-libraries kind=harvested arch=n/a opt=n/a

/******************************************/
/* Begin Kernel                           */
/******************************************/
.amdgcn_target "amdgcn-amd-amdhsa--gfx942"
.text
.protected Custom_Cijk_Alik_Bljk_BBS_BH_MT16x16x128_MI16x16x1_SN_GSUM_K1_MIWT1_1_3_gfx942
.globl Custom_Cijk_Alik_Bljk_BBS_BH_MT16x16x128_MI16x16x1_SN_GSUM_K1_MIWT1_1_3_gfx942
.p2align 8
.type Custom_Cijk_Alik_Bljk_BBS_BH_MT16x16x128_MI16x16x1_SN_GSUM_K1_MIWT1_1_3_gfx942,@function
.section .rodata,#alloc
.p2align 6
.amdhsa_kernel Custom_Cijk_Alik_Bljk_BBS_BH_MT16x16x128_MI16x16x1_SN_GSUM_K1_MIWT1_1_3_gfx942
  .amdhsa_user_sgpr_kernarg_segment_ptr 1
  .amdhsa_accum_offset 256 // accvgpr offset
  .amdhsa_next_free_vgpr 260 // vgprs
  .amdhsa_next_free_sgpr 81 // sgprs
  .amdhsa_group_segment_fixed_size 25600 // lds bytes
  .amdhsa_private_segment_fixed_size 0
  .amdhsa_system_sgpr_workgroup_id_x 1
  .amdhsa_system_sgpr_workgroup_id_y 1
  .amdhsa_system_sgpr_workgroup_id_z 1
  .amdhsa_system_vgpr_workitem_id 0
  .amdhsa_float_denorm_mode_32 3
  .amdhsa_float_denorm_mode_16_64 3
.end_amdhsa_kernel
.text
/* Num VGPR   =252 */
/* Num AccVGPR=4 */
/* Num SGPR   =81 */

/******************************************/
/* Optimizations and Config:              */
/******************************************/
/* ThreadTile= 4 x 1 */
/* SubGroup= 4 x 16 */
/* VectorWidthA=1 */
/* VectorWidthB=1 */
/* GlobalReadVectorWidthA=8, GlobalReadVectorWidthB=8 */
/* DirectToLdsA=False */
/* DirectToLdsB=False */
/* UseSgprForGRO=1 */
.amdgpu_metadata
---
custom.config:
   InternalSupportParams:
      KernArgsVersion: 0
      SupportUserGSU: True
      SupportCustomWGM: True
      SupportCustomStaggerU: False
      UseUniversalArgs: False
amdhsa.version:
  - 1
  - 1
amdhsa.kernels:
  - .name: Custom_Cijk_Alik_Bljk_BBS_BH_MT16x16x128_MI16x16x1_SN_GSUM_K1_MIWT1_1_3_gfx942
    .symbol: 'Custom_Cijk_Alik_Bljk_BBS_BH_MT16x16x128_MI16x16x1_SN_GSUM_K1_MIWT1_1_3_gfx942.kd'
    .language:                   OpenCL C
    .language_version:
      - 2
      - 0
    .args:
      - .name:            SizesFree0
        .size:            4
        .offset:          0
        .value_kind:      by_value
        .value_type:      u32
      - .name:            SizesFree1
        .size:            4
        .offset:          4
        .value_kind:      by_value
        .value_type:      u32
      - .name:            SizesFree2
        .size:            4
        .offset:          8
        .value_kind:      by_value
        .value_type:      u32
      - .name:            SizesSum0
        .size:            4
        .offset:          12
        .value_kind:      by_value
        .value_type:      u32
      - .name:            D
        .size:            8
        .offset:          16
        .value_kind:      global_buffer
        .value_type:      bf16
        .address_space:   generic
      - .name:            C
        .size:            8
        .offset:          24
        .value_kind:      global_buffer
        .value_type:      bf16
        .address_space:   generic
      - .name:            A
        .size:            8
        .offset:          32
        .value_kind:      global_buffer
        .value_type:      bf16
        .address_space:   generic
      - .name:            B
        .size:            8
        .offset:          40
        .value_kind:      global_buffer
        .value_type:      bf16
        .address_space:   generic
      - .name:            strideD0
        .size:            4
        .offset:          48
        .value_kind:      by_value
        .value_type:      u32
      - .name:            strideD1
        .size:            4
        .offset:          52
        .value_kind:      by_value
        .value_type:      u32
      - .name:            strideC0
        .size:            4
        .offset:          56
        .value_kind:      by_value
        .value_type:      u32
      - .name:            strideC1
        .size:            4
        .offset:          60
        .value_kind:      by_value
        .value_type:      u32
      - .name:            strideA0
        .size:            4
        .offset:          64
        .value_kind:      by_value
        .value_type:      u32
      - .name:            strideA1
        .size:            4
        .offset:          68
        .value_kind:      by_value
        .value_type:      u32
      - .name:            strideB0
        .size:            4
        .offset:          72
        .value_kind:      by_value
        .value_type:      u32
      - .name:            strideB1
        .size:            4
        .offset:          76
        .value_kind:      by_value
        .value_type:      u32
      - .name:            alpha
        .size:            4
        .offset:          80
        .value_kind:      by_value
        .value_type:      f32
      - .name:            beta
        .size:            4
        .offset:          84
        .value_kind:      by_value
        .value_type:      f32
      - .name:            internalArgs
        .size:            4
        .offset:          88
        .value_kind:      by_value
        .value_type:      u32
      - .name:            dstD
        .size:            8
        .offset:          92
        .value_kind:      global_buffer
        .value_type:      bf16
        .address_space:   generic
      - .name:            Synchronizer
        .size:            8
        .offset:          100
        .value_kind:      global_buffer
        .value_type:      f32
        .address_space:   generic
      - .name:            GSUSync
        .size:            4
        .offset:          108
        .value_kind:      by_value
        .value_type:      u32
    .group_segment_fixed_size:   25600
    .kernarg_segment_align:      8
    .kernarg_segment_size:       112
    .max_flat_workgroup_size:    64
    .private_segment_fixed_size: 0
    .sgpr_count:                 81
    .sgpr_spill_count:           0
    .vgpr_count:                 252
    .vgpr_spill_count:           0
    .wavefront_size:             64
...
.end_amdgpu_metadata
Custom_Cijk_Alik_Bljk_BBS_BH_MT16x16x128_MI16x16x1_SN_GSUM_K1_MIWT1_1_3_gfx942:
.long 0xC0120700, 0x00000000
.long 0xC00A0B00, 0x00000040
	;; [unrolled: 1-line block ×4, first 2 shown]
.long 0xBF8F0003
.long 0xBEFC00FF, 0x00006400
.long 0x7E8C0300
.long 0x26028CBF
	;; [unrolled: 1-line block ×25, first 2 shown]
.long 0xD2850002, 0x00020433
.long 0xD1FE0044, 0x02060102
.long 0x20068888
.long 0x24060685
	;; [unrolled: 1-line block ×4, first 2 shown]
.long 0xD2850000, 0x00020033
.long 0xD1FE0045, 0x02060300
.long 0x20048A88
.long 0x24040485
.long 0x688A8B02
.long 0x328A8AFF, 0x00001200
.long 0x26088CBF
.long 0x20000884
	;; [unrolled: 1-line block ×5, first 2 shown]
.long 0xD2850000, 0x00020105
.long 0x68000104
.long 0x24020283
	;; [unrolled: 1-line block ×12, first 2 shown]
.long 0x104000FF, 0x00000080
.long 0xD1FE0020, 0x02064104
.long 0x200C4088
.long 0x240C0C85
	;; [unrolled: 1-line block ×3, first 2 shown]
.long 0x104204FF, 0x00000080
.long 0xD1FE0021, 0x02064305
.long 0x200C4288
.long 0x240C0C85
	;; [unrolled: 1-line block ×3, first 2 shown]
.long 0x324242FF, 0x00001200
.long 0xBF8CC07F
.long 0x8609FF32, 0x0000FF00
.long 0x8F098809
	;; [unrolled: 2-line block ×3, first 2 shown]
.long 0x7E0E021C
.long 0x7E0C0D08
	;; [unrolled: 1-line block ×8, first 2 shown]
.long 0xD0CD006A, 0x00010109
.long 0xD11C6A06, 0x01A90106
.long 0x7E100290
.long 0x7E0E021D
	;; [unrolled: 1-line block ×10, first 2 shown]
.long 0xD0CD006A, 0x00010109
.long 0xD11C6A06, 0x01A90106
.long 0xBF800000
.long 0x7E2A0506
	;; [unrolled: 1-line block ×6, first 2 shown]
.long 0xD042006A, 0x00010030
.long 0xBF860001
.long 0xBE9F0080
	;; [unrolled: 1-line block ×9, first 2 shown]
.long 0xD1080007, 0x00006506
.long 0x6A0E0E03
.long 0xD0DA007E, 0x00006507
.long 0x680C0C81
.long 0x7E0E0280
	;; [unrolled: 1-line block ×18, first 2 shown]
.long 0xD1080007, 0x00001306
.long 0x6A0E0E03
.long 0xD0DA007E, 0x00001307
.long 0x680C0C81
.long 0xBEFE01C1
	;; [unrolled: 1-line block ×12, first 2 shown]
.long 0xD1080007, 0x00001306
.long 0x6A0E0E15
.long 0xD0DA007E, 0x00001307
.long 0x680C0C81
.long 0xBEFE01C1
	;; [unrolled: 1-line block ×14, first 2 shown]
.long 0xD1080007, 0x00009906
.long 0x6A0E0E4F
.long 0xD0DA007E, 0x00009907
.long 0x680C0C81
.long 0x7E0E0280
	;; [unrolled: 1-line block ×7, first 2 shown]
.long 0xD2850006, 0x0002002C
.long 0x32440D01
.long 0x68444488
	;; [unrolled: 1-line block ×9, first 2 shown]
.long 0xD2850006, 0x0002042E
.long 0x32460D03
.long 0x68464688
	;; [unrolled: 1-line block ×13, first 2 shown]
.long 0x964D06FF, 0x00000080
.long 0x924C06FF, 0x00000080
.long 0x804E4C4E
.long 0x824F4D4F
	;; [unrolled: 1-line block ×28, first 2 shown]
.long 0xBEB700FF, 0x00020000
.long 0x964F9003
.long 0x924E9003
	;; [unrolled: 1-line block ×4, first 2 shown]
.long 0x964D06FF, 0x00000080
.long 0x924C06FF, 0x00000080
.long 0x804E4C4E
.long 0x824F4D4F
	;; [unrolled: 1-line block ×28, first 2 shown]
.long 0xBEBB00FF, 0x00020000
.long 0x924CFF32, 0x00000100
.long 0xBEC4004C
.long 0x924CFF32, 0x00000100
.long 0xBEC5004C
.long 0x8F0A871F
	;; [unrolled: 1-line block ×9, first 2 shown]
.long 0xD1080001, 0x00006500
.long 0x6A02020A
.long 0xD0DA007E, 0x00006501
.long 0x68000081
.long 0x7E020280
.long 0xBEFE01C1
.long 0x7E140500
.long 0x7E0E0501
.long 0x804C0A81
.long 0xBF0A0706
.long 0xBE8A024C
.long 0xBE8B000A
.long 0xBECC0084
.long 0x8E4D804C
.long 0xBF094D0B
.long 0xBF850002
.long 0x8F4C814C
.long 0xBF82FFFB
.long 0x80CD814C
.long 0xBF09814C
.long 0x8533804D
.long 0x86330433
.long 0x8E338033
.long 0x96CD4433
.long 0x924C4433
.long 0x96C1440A
.long 0x9240440A
.long 0x80C04044
.long 0x82C14180
.long 0x80344C34
.long 0x82354D35
.long 0x80BC4C3C
.long 0x82BD4D3D
.long 0xBF06803D
.long 0x8536C13C
.long 0x96CD4533
.long 0x924C4533
.long 0x96C3450A
.long 0x9242450A
.long 0x80C24245
.long 0x82C34380
.long 0x80384C38
.long 0x82394D39
.long 0x80BE4C3E
.long 0x82BF4D3F
.long 0xBF06803F
.long 0x853AC13E
.long 0x80338233
.long 0xBF06800A
.long 0xBF8F0000
.long 0xBF850024
.long 0xE05C1000, 0x800D2422
.long 0xE05C1000, 0x460D2822
	;; [unrolled: 1-line block ×8, first 2 shown]
.long 0x804E810A
.long 0xBF064E33
	;; [unrolled: 1-line block ×22, first 2 shown]
.long 0xBE8E00FF, 0x80000000
.long 0xBE8F00FF, 0x00020000
.long 0xBE900022
.long 0xBE910023
.long 0xBE9200FF, 0x80000000
.long 0xBE9300FF, 0x00020000
.long 0x924E0390
.long 0x964D2A4E
	;; [unrolled: 1-line block ×42, first 2 shown]
.long 0xD3D94000, 0x18000080
.long 0xD3D94001, 0x18000080
	;; [unrolled: 1-line block ×4, first 2 shown]
.long 0xBF06800A
.long 0xBF840006
	;; [unrolled: 1-line block ×3, first 2 shown]
.long 0x814E84FF, 0x00001DC0
.long 0x804C4E4C
.long 0x824D804D
	;; [unrolled: 1-line block ×4, first 2 shown]
.long 0xD9BE0000, 0x00002420
.long 0xD9BE0120, 0x00002820
	;; [unrolled: 1-line block ×10, first 2 shown]
.long 0xBF06810A
.long 0xBF850010
.long 0xE05C1000, 0x800D2422
.long 0xE05C1000, 0x460D2822
	;; [unrolled: 1-line block ×8, first 2 shown]
.long 0xBF8CC07F
.long 0xD9FE0000, 0x00000044
.long 0xD9FE0000, 0x10000045
.long 0xBF06810A
.long 0xBF8500D1
	;; [unrolled: 1-line block ×4, first 2 shown]
.long 0xD9FE0040, 0x04000044
.long 0xD9FE0040, 0x14000045
.long 0xBF06330A
.long 0x854C4440
.long 0x854D8041
.long 0x80344C34
.long 0x82354D35
.long 0x80BC4C3C
.long 0x82BD4D3D
.long 0xBF06803D
.long 0x8536C13C
.long 0xBF06330A
.long 0x854C4542
.long 0x854D8043
.long 0x80384C38
.long 0xBF8CC27F
.long 0xD3E18000, 0x04022100
.long 0xD9FE0080, 0x08000044
	;; [unrolled: 1-line block ×3, first 2 shown]
.long 0x82394D39
.long 0xBF8CC47F
.long 0xD3E18000, 0x04022502
.long 0xD9FE00C0, 0x0C000044
	;; [unrolled: 1-line block ×3, first 2 shown]
.long 0x80BE4C3E
.long 0xBF8CC47F
.long 0xD3E18000, 0x04022904
.long 0x82BF4D3F
.long 0xBF8CC47F
.long 0xD3E18000, 0x04022D06
	;; [unrolled: 3-line block ×3, first 2 shown]
.long 0x853AC13E
.long 0xBF8F0003
	;; [unrolled: 1-line block ×3, first 2 shown]
.long 0xD9BE0000, 0x00002420
.long 0xE05C1000, 0x800D2422
.long 0xBF8C0F77
.long 0xD9BE0120, 0x00002820
.long 0xE05C1000, 0x460D2822
.long 0xBF8C0F77
	;; [unrolled: 3-line block ×7, first 2 shown]
.long 0xD9BE0D80, 0x00004021
.long 0xE05C1000, 0x4B0E4023
	;; [unrolled: 1-line block ×4, first 2 shown]
.long 0xBF8CCA7F
.long 0xD3E18000, 0x0402350A
.long 0x2A8888FF, 0x00004000
	;; [unrolled: 1-line block ×3, first 2 shown]
.long 0xBF8CC87F
.long 0xD3E18000, 0x0402390C
.long 0xBF8F0000
.long 0xBF8CC07F
.long 0xD9FE0000, 0x00000044
.long 0xD9FE0000, 0x10000045
.long 0xBF8CCA7F
.long 0xD3E18000, 0x04023D0E
.long 0xBF8F0000
.long 0x808A810A
	;; [unrolled: 1-line block ×4, first 2 shown]
.long 0xD9FE0040, 0x04000044
.long 0xD9FE0040, 0x14000045
.long 0xBF06330A
.long 0x854C4440
	;; [unrolled: 1-line block ×14, first 2 shown]
.long 0xD3E18000, 0x04022100
.long 0xD9FE0080, 0x08000044
	;; [unrolled: 1-line block ×3, first 2 shown]
.long 0x82394D39
.long 0xBF8CC47F
.long 0xD3E18000, 0x04022502
.long 0xD9FE00C0, 0x0C000044
	;; [unrolled: 1-line block ×3, first 2 shown]
.long 0x80BE4C3E
.long 0xBF8CC47F
.long 0xD3E18000, 0x04022904
.long 0x82BF4D3F
.long 0xBF8CC47F
.long 0xD3E18000, 0x04022D06
	;; [unrolled: 3-line block ×3, first 2 shown]
.long 0x853AC13E
.long 0xBF8F0003
	;; [unrolled: 1-line block ×3, first 2 shown]
.long 0xD9BE0000, 0x00002420
.long 0xBF8C0F76
.long 0xD9BE0120, 0x00002820
.long 0xBF8C0F75
	;; [unrolled: 2-line block ×7, first 2 shown]
.long 0xD9BE0D80, 0x00004021
.long 0x2A4040FF, 0x00004000
	;; [unrolled: 1-line block ×3, first 2 shown]
.long 0xBF8CCA7F
.long 0xD3E18000, 0x0402350A
.long 0x2A8888FF, 0x00004000
	;; [unrolled: 1-line block ×3, first 2 shown]
.long 0xBF8CC87F
.long 0xD3E18000, 0x0402390C
.long 0xBF8F0000
.long 0xBF8CC07F
.long 0xD9FE0000, 0x00000044
.long 0xD9FE0000, 0x10000045
.long 0xBF8CCA7F
.long 0xD3E18000, 0x04023D0E
.long 0xBF8F0000
.long 0xBF068132
.long 0xBF840645
.long 0xB4310000
.long 0xBF840643
.long 0xBF06F230
.long 0xBF840641
.long 0x864C1C8F
.long 0x804D14C1
.long 0xBF094D02
.long 0x854C804C
.long 0xB54C0000
.long 0xBF85063B
.long 0x864C1D8F
.long 0x804D15C1
.long 0xBF094D03
.long 0x854C804C
.long 0xB54C0000
.long 0xBF850635
.long 0x864D1FFF, 0x0000007F
.long 0xBF06804D
.long 0xBF840631
.long 0xD9FE0040, 0x04000044
.long 0xD9FE0040, 0x14000045
.long 0xBF8CC27F
.long 0xD3E18000, 0x04022100
.long 0xD9FE0080, 0x08000044
.long 0xD9FE0080, 0x18000045
.long 0xBF8CC47F
.long 0xD3E18000, 0x04022502
	;; [unrolled: 4-line block ×3, first 2 shown]
.long 0xBF8CC47F
.long 0xD3E18000, 0x04022D06
.long 0xBF8CC27F
.long 0xD3E18000, 0x04023108
.long 0xBF8F0003
.long 0xBF8CC27F
.long 0xD3E18000, 0x0402350A
.long 0xBF8CC07F
.long 0xD3E18000, 0x0402390C
.long 0xBF8F0000
	;; [unrolled: 5-line block ×3, first 2 shown]
.long 0x20020880
.long 0xD2850001, 0x00020290
.long 0x260A8C8F
.long 0xD1FE0001, 0x02020305
.long 0xD2850002, 0x00005501
	;; [unrolled: 1-line block ×3, first 2 shown]
.long 0x260A0880
.long 0xD2850005, 0x00020A90
.long 0x26008CBF
.long 0x20000084
	;; [unrolled: 1-line block ×3, first 2 shown]
.long 0xD1FE0000, 0x02020105
.long 0x92330290
.long 0x68000033
	;; [unrolled: 1-line block ×5, first 2 shown]
.long 0xBEBB00FF, 0x00020000
.long 0xBEBA00FF, 0x80000000
.long 0x92330390
.long 0x963D2A33
	;; [unrolled: 1-line block ×11, first 2 shown]
.long 0xD1FE000A, 0x02060103
.long 0xD1FE000B, 0x02060103
	;; [unrolled: 1-line block ×6, first 2 shown]
.long 0xBF800001
.long 0xE074D000, 0x8003100A
.long 0xBF800000
.long 0x7E660546
	;; [unrolled: 1-line block ×21, first 2 shown]
.long 0xC2330CCC, 0x00000000
.long 0x9645811C
.long 0x9244811C
	;; [unrolled: 1-line block ×26, first 2 shown]
.long 0x7E1C02FF, 0x80000000
.long 0xBEC40016
.long 0xBEC50017
	;; [unrolled: 1-line block ×4, first 2 shown]
.long 0xE05CD000, 0x8011100A
.long 0xBE850032
.long 0x81858105
	;; [unrolled: 1-line block ×6, first 2 shown]
.long 0xD0C60042, 0x00000A80
.long 0xD100000F, 0x010A1D0A
.long 0xE05CD000, 0x8011480F
.long 0x81858105
.long 0x80444044
.long 0x82454145
.long 0xBF008005
.long 0xBF85054D
.long 0xD0C60042, 0x00000A80
.long 0xD100000F, 0x010A1D0A
.long 0xE05CD000, 0x80114C0F
.long 0x81858105
.long 0x80444044
.long 0x82454145
.long 0xBF008005
.long 0xBF850531
	;; [unrolled: 8-line block ×14, first 2 shown]
.long 0xD0C60042, 0x00000A80
.long 0xD100000F, 0x010A1D0A
.long 0xE05CD000, 0x8011800F
.long 0xBF8C0F7E
.long 0xD3B24010, 0x18029110
.long 0xD3B24012, 0x18029512
.long 0x81858105
.long 0xBF05CE05
.long 0xBF8504BA
.long 0x80444044
.long 0x82454145
.long 0xD0C60042, 0x00000A80
.long 0xD100000F, 0x010A1D0A
.long 0xE05CD000, 0x8011480F
.long 0xBF8C0F7E
.long 0xD3B24010, 0x18029910
.long 0xD3B24012, 0x18029D12
.long 0x81858105
.long 0xBF05CE05
.long 0xBF8504AA
.long 0x80444044
.long 0x82454145
.long 0xD0C60042, 0x00000A80
.long 0xD100000F, 0x010A1D0A
.long 0xE05CD000, 0x80114C0F
.long 0xBF8C0F7E
.long 0xD3B24010, 0x1802A110
.long 0xD3B24012, 0x1802A512
.long 0x81858105
.long 0xBF05CE05
.long 0xBF85049A
.long 0x80444044
.long 0x82454145
.long 0xD0C60042, 0x00000A80
.long 0xD100000F, 0x010A1D0A
.long 0xE05CD000, 0x8011500F
.long 0xBF8C0F7E
.long 0xD3B24010, 0x1802A910
.long 0xD3B24012, 0x1802AD12
.long 0x81858105
.long 0xBF05CE05
.long 0xBF85048A
.long 0x80444044
.long 0x82454145
.long 0xD0C60042, 0x00000A80
.long 0xD100000F, 0x010A1D0A
.long 0xE05CD000, 0x8011540F
.long 0xBF8C0F7E
.long 0xD3B24010, 0x1802B110
.long 0xD3B24012, 0x1802B512
.long 0x81858105
.long 0xBF05CE05
.long 0xBF85047A
.long 0x80444044
.long 0x82454145
.long 0xD0C60042, 0x00000A80
.long 0xD100000F, 0x010A1D0A
.long 0xE05CD000, 0x8011580F
.long 0xBF8C0F7E
.long 0xD3B24010, 0x1802B910
.long 0xD3B24012, 0x1802BD12
.long 0x81858105
.long 0xBF05CE05
.long 0xBF85046A
.long 0x80444044
.long 0x82454145
.long 0xD0C60042, 0x00000A80
.long 0xD100000F, 0x010A1D0A
.long 0xE05CD000, 0x80115C0F
.long 0xBF8C0F7E
.long 0xD3B24010, 0x1802C110
.long 0xD3B24012, 0x1802C512
.long 0x81858105
.long 0xBF05CE05
.long 0xBF85045A
.long 0x80444044
.long 0x82454145
.long 0xD0C60042, 0x00000A80
.long 0xD100000F, 0x010A1D0A
.long 0xE05CD000, 0x8011600F
.long 0xBF8C0F7E
.long 0xD3B24010, 0x1802C910
.long 0xD3B24012, 0x1802CD12
.long 0x81858105
.long 0xBF05CE05
.long 0xBF85044A
.long 0x80444044
.long 0x82454145
.long 0xD0C60042, 0x00000A80
.long 0xD100000F, 0x010A1D0A
.long 0xE05CD000, 0x8011640F
.long 0xBF8C0F7E
.long 0xD3B24010, 0x1802D110
.long 0xD3B24012, 0x1802D512
.long 0x81858105
.long 0xBF05CE05
.long 0xBF85043A
.long 0x80444044
.long 0x82454145
.long 0xD0C60042, 0x00000A80
.long 0xD100000F, 0x010A1D0A
.long 0xE05CD000, 0x8011680F
.long 0xBF8C0F7E
.long 0xD3B24010, 0x1802D910
.long 0xD3B24012, 0x1802DD12
.long 0x81858105
.long 0xBF05CE05
.long 0xBF85042A
.long 0x80444044
.long 0x82454145
.long 0xD0C60042, 0x00000A80
.long 0xD100000F, 0x010A1D0A
.long 0xE05CD000, 0x80116C0F
.long 0xBF8C0F7E
.long 0xD3B24010, 0x1802E110
.long 0xD3B24012, 0x1802E512
.long 0x81858105
.long 0xBF05CE05
.long 0xBF85041A
.long 0x80444044
.long 0x82454145
.long 0xD0C60042, 0x00000A80
.long 0xD100000F, 0x010A1D0A
.long 0xE05CD000, 0x8011700F
.long 0xBF8C0F7E
.long 0xD3B24010, 0x1802E910
.long 0xD3B24012, 0x1802ED12
.long 0x81858105
.long 0xBF05CE05
.long 0xBF85040A
.long 0x80444044
.long 0x82454145
.long 0xD0C60042, 0x00000A80
.long 0xD100000F, 0x010A1D0A
.long 0xE05CD000, 0x8011740F
.long 0xBF8C0F7E
.long 0xD3B24010, 0x1802F110
.long 0xD3B24012, 0x1802F512
.long 0x81858105
.long 0xBF05CE05
.long 0xBF8503FA
.long 0x80444044
.long 0x82454145
.long 0xD0C60042, 0x00000A80
.long 0xD100000F, 0x010A1D0A
.long 0xE05CD000, 0x8011780F
.long 0xBF8C0F7E
.long 0xD3B24010, 0x1802F910
.long 0xD3B24012, 0x1802FD12
.long 0x81858105
.long 0xBF05CE05
.long 0xBF8503EA
.long 0x80444044
.long 0x82454145
.long 0xD0C60042, 0x00000A80
.long 0xD100000F, 0x010A1D0A
.long 0xE05CD000, 0x80117C0F
.long 0xBF8C0F7E
.long 0xD3B24010, 0x18030110
.long 0xD3B24012, 0x18030512
.long 0x81858105
.long 0xBF05CE05
.long 0xBF8503DA
.long 0x80444044
.long 0x82454145
.long 0xD0C60042, 0x00000A80
.long 0xD100000F, 0x010A1D0A
	;; [unrolled: 1-line block ×3, first 2 shown]
.long 0xBF02CE05
.long 0xBF85FF0E
.long 0xBE850032
.long 0xBF8C0F7E
.long 0xD3B24010, 0x18029110
.long 0xD3B24012, 0x18029512
.long 0x81858105
.long 0xBF008105
.long 0xBF8503C7
.long 0xBF8C0F7D
.long 0xD3B24010, 0x18029910
.long 0xD3B24012, 0x18029D12
	;; [unrolled: 6-line block ×15, first 2 shown]
.long 0x81858105
.long 0xBF008105
	;; [unrolled: 1-line block ×5, first 2 shown]
.long 0xD3B24010, 0x18029110
.long 0xD3B24012, 0x18029512
.long 0x81858105
.long 0xBF008105
.long 0xBF85034E
.long 0xBF8C0F7C
.long 0xD3B24010, 0x18029910
.long 0xD3B24012, 0x18029D12
.long 0x81858105
.long 0xBF008105
.long 0xBF850346
.long 0xBF8C0F7B
	;; [unrolled: 6-line block ×14, first 2 shown]
.long 0xBF8C0F7C
.long 0xD3B24010, 0x18029110
.long 0xD3B24012, 0x18029512
.long 0x81858105
.long 0xBF008105
.long 0xBF8502DD
.long 0xBF8C0F7B
.long 0xD3B24010, 0x18029910
.long 0xD3B24012, 0x18029D12
.long 0x81858105
.long 0xBF008105
.long 0xBF8502D5
	;; [unrolled: 6-line block ×13, first 2 shown]
.long 0xBE850032
.long 0xBF8C0F7B
.long 0xD3B24010, 0x18029110
.long 0xD3B24012, 0x18029512
.long 0x81858105
.long 0xBF008105
.long 0xBF850274
.long 0xBF8C0F7A
.long 0xD3B24010, 0x18029910
.long 0xD3B24012, 0x18029D12
.long 0x81858105
.long 0xBF008105
	;; [unrolled: 6-line block ×12, first 2 shown]
.long 0xBF85021C
.long 0xBE850032
.long 0xBF8C0F7A
.long 0xD3B24010, 0x18029110
.long 0xD3B24012, 0x18029512
.long 0x81858105
.long 0xBF008105
.long 0xBF850213
.long 0xBF8C0F79
.long 0xD3B24010, 0x18029910
.long 0xD3B24012, 0x18029D12
.long 0x81858105
.long 0xBF008105
.long 0xBF85020B
.long 0xBF8C0F78
.long 0xD3B24010, 0x1802A110
.long 0xD3B24012, 0x1802A512
.long 0x81858105
.long 0xBF008105
.long 0xBF850203
.long 0xBF8C0F77
.long 0xD3B24010, 0x1802A910
.long 0xD3B24012, 0x1802AD12
.long 0x81858105
.long 0xBF008105
.long 0xBF8501FB
.long 0xBF8C0F76
.long 0xD3B24010, 0x1802B110
.long 0xD3B24012, 0x1802B512
.long 0x81858105
.long 0xBF008105
.long 0xBF8501F3
.long 0xBF8C0F75
.long 0xD3B24010, 0x1802B910
.long 0xD3B24012, 0x1802BD12
.long 0x81858105
.long 0xBF008105
.long 0xBF8501EB
.long 0xBF8C0F74
.long 0xD3B24010, 0x1802C110
.long 0xD3B24012, 0x1802C512
.long 0x81858105
.long 0xBF008105
.long 0xBF8501E3
.long 0xBF8C0F73
.long 0xD3B24010, 0x1802C910
.long 0xD3B24012, 0x1802CD12
.long 0x81858105
.long 0xBF008105
.long 0xBF8501DB
.long 0xBF8C0F72
.long 0xD3B24010, 0x1802D110
.long 0xD3B24012, 0x1802D512
.long 0x81858105
.long 0xBF008105
.long 0xBF8501D3
.long 0xBF8C0F71
.long 0xD3B24010, 0x1802D910
.long 0xD3B24012, 0x1802DD12
.long 0x81858105
.long 0xBF008105
.long 0xBF8501CB
.long 0xBF8C0F70
.long 0xD3B24010, 0x1802E110
.long 0xD3B24012, 0x1802E512
.long 0x81858105
.long 0xBF008105
.long 0xBF8501C3
.long 0xBE850032
.long 0xBF8C0F79
.long 0xD3B24010, 0x18029110
.long 0xD3B24012, 0x18029512
.long 0x81858105
.long 0xBF008105
.long 0xBF8501BA
.long 0xBF8C0F78
.long 0xD3B24010, 0x18029910
.long 0xD3B24012, 0x18029D12
	;; [unrolled: 6-line block ×10, first 2 shown]
.long 0x81858105
.long 0xBF008105
	;; [unrolled: 1-line block ×5, first 2 shown]
.long 0xD3B24010, 0x18029110
.long 0xD3B24012, 0x18029512
.long 0x81858105
.long 0xBF008105
.long 0xBF850169
.long 0xBF8C0F77
.long 0xD3B24010, 0x18029910
.long 0xD3B24012, 0x18029D12
.long 0x81858105
.long 0xBF008105
.long 0xBF850161
.long 0xBF8C0F76
.long 0xD3B24010, 0x1802A110
.long 0xD3B24012, 0x1802A512
.long 0x81858105
.long 0xBF008105
.long 0xBF850159
.long 0xBF8C0F75
.long 0xD3B24010, 0x1802A910
.long 0xD3B24012, 0x1802AD12
.long 0x81858105
.long 0xBF008105
.long 0xBF850151
.long 0xBF8C0F74
.long 0xD3B24010, 0x1802B110
.long 0xD3B24012, 0x1802B512
.long 0x81858105
.long 0xBF008105
.long 0xBF850149
.long 0xBF8C0F73
.long 0xD3B24010, 0x1802B910
.long 0xD3B24012, 0x1802BD12
.long 0x81858105
.long 0xBF008105
.long 0xBF850141
.long 0xBF8C0F72
.long 0xD3B24010, 0x1802C110
.long 0xD3B24012, 0x1802C512
.long 0x81858105
.long 0xBF008105
.long 0xBF850139
.long 0xBF8C0F71
.long 0xD3B24010, 0x1802C910
.long 0xD3B24012, 0x1802CD12
.long 0x81858105
.long 0xBF008105
.long 0xBF850131
.long 0xBF8C0F70
.long 0xD3B24010, 0x1802D110
.long 0xD3B24012, 0x1802D512
.long 0x81858105
.long 0xBF008105
.long 0xBF850129
.long 0xBE850032
.long 0xBF8C0F77
.long 0xD3B24010, 0x18029110
.long 0xD3B24012, 0x18029512
.long 0x81858105
.long 0xBF008105
.long 0xBF850120
.long 0xBF8C0F76
.long 0xD3B24010, 0x18029910
.long 0xD3B24012, 0x18029D12
.long 0x81858105
.long 0xBF008105
.long 0xBF850118
	;; [unrolled: 6-line block ×8, first 2 shown]
.long 0xBE850032
.long 0xBF8C0F76
.long 0xD3B24010, 0x18029110
.long 0xD3B24012, 0x18029512
.long 0x81858105
.long 0xBF008105
.long 0xBF8500DF
.long 0xBF8C0F75
.long 0xD3B24010, 0x18029910
.long 0xD3B24012, 0x18029D12
.long 0x81858105
.long 0xBF008105
	;; [unrolled: 6-line block ×7, first 2 shown]
.long 0xBF8500AF
.long 0xBE850032
.long 0xBF8C0F75
.long 0xD3B24010, 0x18029110
.long 0xD3B24012, 0x18029512
.long 0x81858105
.long 0xBF008105
.long 0xBF8500A6
.long 0xBF8C0F74
.long 0xD3B24010, 0x18029910
.long 0xD3B24012, 0x18029D12
.long 0x81858105
	;; [unrolled: 6-line block ×6, first 2 shown]
.long 0xBF008105
.long 0xBF85007E
.long 0xBE850032
.long 0xBF8C0F74
.long 0xD3B24010, 0x18029110
.long 0xD3B24012, 0x18029512
.long 0x81858105
.long 0xBF008105
.long 0xBF850075
.long 0xBF8C0F73
.long 0xD3B24010, 0x18029910
.long 0xD3B24012, 0x18029D12
	;; [unrolled: 6-line block ×5, first 2 shown]
.long 0x81858105
.long 0xBF008105
	;; [unrolled: 1-line block ×5, first 2 shown]
.long 0xD3B24010, 0x18029110
.long 0xD3B24012, 0x18029512
.long 0x81858105
.long 0xBF008105
.long 0xBF85004C
.long 0xBF8C0F72
.long 0xD3B24010, 0x18029910
.long 0xD3B24012, 0x18029D12
.long 0x81858105
.long 0xBF008105
.long 0xBF850044
.long 0xBF8C0F71
	;; [unrolled: 6-line block ×4, first 2 shown]
.long 0xBF8C0F72
.long 0xD3B24010, 0x18029110
.long 0xD3B24012, 0x18029512
.long 0x81858105
.long 0xBF008105
.long 0xBF85002B
.long 0xBF8C0F71
.long 0xD3B24010, 0x18029910
.long 0xD3B24012, 0x18029D12
.long 0x81858105
.long 0xBF008105
.long 0xBF850023
.long 0xBF8C0F70
.long 0xD3B24010, 0x1802A110
.long 0xD3B24012, 0x1802A512
.long 0x81858105
.long 0xBF008105
.long 0xBF85001B
.long 0xBE850032
.long 0xBF8C0F71
.long 0xD3B24010, 0x18029110
.long 0xD3B24012, 0x18029512
.long 0x81858105
.long 0xBF008105
	;; [unrolled: 1-line block ×4, first 2 shown]
.long 0xD3B24010, 0x18029910
.long 0xD3B24012, 0x18029D12
.long 0x81858105
.long 0xBF008105
	;; [unrolled: 1-line block ×5, first 2 shown]
.long 0xD3B24010, 0x18029110
.long 0xD3B24012, 0x18029512
.long 0x81858105
.long 0xBF008105
	;; [unrolled: 1-line block ×4, first 2 shown]
.long 0x7E0E02FF, 0xFFFF0000
.long 0x7E1002FF, 0x7FFF0000
	;; [unrolled: 1-line block ×7, first 2 shown]
.long 0x20202090
.long 0xD048003C, 0x00022311
.long 0xD1C80006, 0x02052111
	;; [unrolled: 1-line block ×9, first 2 shown]
.long 0x20242490
.long 0xD048003C, 0x00022713
.long 0xD1C80006, 0x02052113
	;; [unrolled: 1-line block ×6, first 2 shown]
.long 0xBF800000
.long 0xBF820000
	;; [unrolled: 1-line block ×3, first 2 shown]
.long 0xD9FE0040, 0x04000044
.long 0xD9FE0040, 0x14000045
.long 0xBF8CC27F
.long 0xD3E18000, 0x04022100
.long 0xD9FE0080, 0x08000044
.long 0xD9FE0080, 0x18000045
.long 0xBF8CC47F
.long 0xD3E18000, 0x04022502
	;; [unrolled: 4-line block ×3, first 2 shown]
.long 0xBF8CC47F
.long 0xD3E18000, 0x04022D06
.long 0xBF8CC27F
.long 0xD3E18000, 0x04023108
.long 0xBF8F0003
.long 0xBF8CC27F
.long 0xD3E18000, 0x0402350A
.long 0xBF8CC07F
.long 0xD3E18000, 0x0402390C
.long 0xBF8F0000
.long 0xBF8CC07F
.long 0xD3E18000, 0x04023D0E
.long 0x264040FF, 0x00F03FFF
	;; [unrolled: 1-line block ×4, first 2 shown]
.long 0xBF070706
.long 0xBE8A0280
	;; [unrolled: 1-line block ×27, first 2 shown]
.long 0xE0501000, 0x800D2422
.long 0xE0501004, 0x800D2522
	;; [unrolled: 1-line block ×32, first 2 shown]
.long 0xBF8C0F70
.long 0xD9BE0000, 0x00002420
.long 0xD9BE0120, 0x00002820
	;; [unrolled: 1-line block ×8, first 2 shown]
.long 0x26028CBF
.long 0x2600028F
	;; [unrolled: 1-line block ×24, first 2 shown]
.long 0xD2850002, 0x00020405
.long 0xD1FE0044, 0x02060102
.long 0x20068888
.long 0x24060685
	;; [unrolled: 1-line block ×4, first 2 shown]
.long 0xD2850000, 0x00020005
.long 0xD1FE0045, 0x02060300
.long 0x20048A88
.long 0x24040485
	;; [unrolled: 1-line block ×3, first 2 shown]
.long 0x328A8AFF, 0x00001200
.long 0xBF8CC07F
.long 0x268888FF, 0x00003FFF
.long 0x268A8AFF, 0x00003FFF
	;; [unrolled: 1-line block ×4, first 2 shown]
.long 0xBE8500A0
.long 0x32888805
	;; [unrolled: 1-line block ×7, first 2 shown]
.long 0xD0C6004C, 0x00001520
.long 0xD1000000, 0x01310100
.long 0xD1000001, 0x01310101
.long 0xD1000010, 0x01310110
.long 0xD1000011, 0x01310111
.long 0xBF800001
.long 0xD3E18000, 0x04022100
.long 0x818A900A
.long 0x800B900B
	;; [unrolled: 1-line block ×5, first 2 shown]
.long 0xC00A0D00, 0x0000005C
.long 0x20088C86
.long 0x20020880
.long 0xD2850001, 0x00020290
.long 0x260A8C8F
.long 0xD1FE0001, 0x02020305
.long 0xD2850002, 0x00005501
	;; [unrolled: 1-line block ×3, first 2 shown]
.long 0x260A0880
.long 0xD2850005, 0x00020A90
.long 0x26008CBF
.long 0x20000084
	;; [unrolled: 1-line block ×3, first 2 shown]
.long 0xD1FE0000, 0x02020105
.long 0x92330290
.long 0x68000033
.long 0x92330390
.long 0x68020233
.long 0xBF8CC07F
.long 0xBEBB00FF, 0x00020000
.long 0xBEBA00FF, 0x80000000
.long 0x92330390
.long 0x963D2A33
	;; [unrolled: 1-line block ×25, first 2 shown]
.long 0xD1FE000A, 0x020A0103
.long 0xD1FE000B, 0x02060103
	;; [unrolled: 1-line block ×6, first 2 shown]
.long 0xBF800001
.long 0xE07CD000, 0x8003100A
.long 0xBF800000
.long 0x7E660546
	;; [unrolled: 1-line block ×21, first 2 shown]
.long 0xC2330CCC, 0x00000000
.long 0x9645811C
.long 0x9244811C
	;; [unrolled: 1-line block ×26, first 2 shown]
.long 0x7E1C02FF, 0x80000000
.long 0xBEC40016
.long 0xBEC50017
	;; [unrolled: 1-line block ×4, first 2 shown]
.long 0xE05CD000, 0x8011100A
.long 0xBE850032
.long 0x81858105
	;; [unrolled: 1-line block ×6, first 2 shown]
.long 0xD0C60042, 0x00000A80
.long 0xD100000F, 0x010A1D0A
.long 0xE05CD000, 0x8011480F
.long 0x81858105
.long 0x80444044
.long 0x82454145
.long 0xBF008005
.long 0xBF85054D
.long 0xD0C60042, 0x00000A80
.long 0xD100000F, 0x010A1D0A
.long 0xE05CD000, 0x80114C0F
.long 0x81858105
.long 0x80444044
.long 0x82454145
.long 0xBF008005
.long 0xBF850531
	;; [unrolled: 8-line block ×14, first 2 shown]
.long 0xD0C60042, 0x00000A80
.long 0xD100000F, 0x010A1D0A
.long 0xE05CD000, 0x8011800F
.long 0xBF8C0F7E
.long 0xD3B24010, 0x18029110
.long 0xD3B24012, 0x18029512
.long 0x81858105
.long 0xBF05CE05
.long 0xBF8504BA
.long 0x80444044
.long 0x82454145
.long 0xD0C60042, 0x00000A80
.long 0xD100000F, 0x010A1D0A
.long 0xE05CD000, 0x8011480F
.long 0xBF8C0F7E
.long 0xD3B24010, 0x18029910
.long 0xD3B24012, 0x18029D12
.long 0x81858105
.long 0xBF05CE05
.long 0xBF8504AA
.long 0x80444044
.long 0x82454145
	;; [unrolled: 11-line block ×15, first 2 shown]
.long 0xD0C60042, 0x00000A80
.long 0xD100000F, 0x010A1D0A
.long 0xE05CD000, 0x8011800F
.long 0xBF02CE05
.long 0xBF85FF0E
.long 0xBE850032
.long 0xBF8C0F7E
.long 0xD3B24010, 0x18029110
.long 0xD3B24012, 0x18029512
.long 0x81858105
.long 0xBF008105
.long 0xBF8503C7
.long 0xBF8C0F7D
.long 0xD3B24010, 0x18029910
.long 0xD3B24012, 0x18029D12
	;; [unrolled: 6-line block ×15, first 2 shown]
.long 0x81858105
.long 0xBF008105
.long 0xBF850357
.long 0xBE850032
.long 0xBF8C0F7D
.long 0xD3B24010, 0x18029110
.long 0xD3B24012, 0x18029512
.long 0x81858105
.long 0xBF008105
.long 0xBF85034E
.long 0xBF8C0F7C
.long 0xD3B24010, 0x18029910
.long 0xD3B24012, 0x18029D12
.long 0x81858105
.long 0xBF008105
.long 0xBF850346
.long 0xBF8C0F7B
	;; [unrolled: 6-line block ×14, first 2 shown]
.long 0xBF8C0F7C
.long 0xD3B24010, 0x18029110
.long 0xD3B24012, 0x18029512
.long 0x81858105
.long 0xBF008105
.long 0xBF8502DD
.long 0xBF8C0F7B
.long 0xD3B24010, 0x18029910
.long 0xD3B24012, 0x18029D12
.long 0x81858105
.long 0xBF008105
.long 0xBF8502D5
.long 0xBF8C0F7A
.long 0xD3B24010, 0x1802A110
.long 0xD3B24012, 0x1802A512
.long 0x81858105
.long 0xBF008105
.long 0xBF8502CD
.long 0xBF8C0F79
.long 0xD3B24010, 0x1802A910
.long 0xD3B24012, 0x1802AD12
.long 0x81858105
.long 0xBF008105
.long 0xBF8502C5
.long 0xBF8C0F78
.long 0xD3B24010, 0x1802B110
.long 0xD3B24012, 0x1802B512
.long 0x81858105
.long 0xBF008105
.long 0xBF8502BD
.long 0xBF8C0F77
.long 0xD3B24010, 0x1802B910
.long 0xD3B24012, 0x1802BD12
.long 0x81858105
.long 0xBF008105
.long 0xBF8502B5
.long 0xBF8C0F76
.long 0xD3B24010, 0x1802C110
.long 0xD3B24012, 0x1802C512
.long 0x81858105
.long 0xBF008105
.long 0xBF8502AD
.long 0xBF8C0F75
.long 0xD3B24010, 0x1802C910
.long 0xD3B24012, 0x1802CD12
.long 0x81858105
.long 0xBF008105
.long 0xBF8502A5
.long 0xBF8C0F74
.long 0xD3B24010, 0x1802D110
.long 0xD3B24012, 0x1802D512
.long 0x81858105
.long 0xBF008105
.long 0xBF85029D
.long 0xBF8C0F73
.long 0xD3B24010, 0x1802D910
.long 0xD3B24012, 0x1802DD12
.long 0x81858105
.long 0xBF008105
.long 0xBF850295
.long 0xBF8C0F72
.long 0xD3B24010, 0x1802E110
.long 0xD3B24012, 0x1802E512
.long 0x81858105
.long 0xBF008105
.long 0xBF85028D
.long 0xBF8C0F71
.long 0xD3B24010, 0x1802E910
.long 0xD3B24012, 0x1802ED12
.long 0x81858105
.long 0xBF008105
.long 0xBF850285
.long 0xBF8C0F70
.long 0xD3B24010, 0x1802F110
.long 0xD3B24012, 0x1802F512
.long 0x81858105
.long 0xBF008105
.long 0xBF85027D
.long 0xBE850032
.long 0xBF8C0F7B
.long 0xD3B24010, 0x18029110
.long 0xD3B24012, 0x18029512
.long 0x81858105
.long 0xBF008105
.long 0xBF850274
.long 0xBF8C0F7A
.long 0xD3B24010, 0x18029910
.long 0xD3B24012, 0x18029D12
.long 0x81858105
.long 0xBF008105
	;; [unrolled: 6-line block ×12, first 2 shown]
.long 0xBF85021C
.long 0xBE850032
.long 0xBF8C0F7A
.long 0xD3B24010, 0x18029110
.long 0xD3B24012, 0x18029512
.long 0x81858105
.long 0xBF008105
.long 0xBF850213
.long 0xBF8C0F79
.long 0xD3B24010, 0x18029910
.long 0xD3B24012, 0x18029D12
.long 0x81858105
	;; [unrolled: 6-line block ×11, first 2 shown]
.long 0xBF008105
.long 0xBF8501C3
.long 0xBE850032
.long 0xBF8C0F79
.long 0xD3B24010, 0x18029110
.long 0xD3B24012, 0x18029512
.long 0x81858105
.long 0xBF008105
.long 0xBF8501BA
.long 0xBF8C0F78
.long 0xD3B24010, 0x18029910
.long 0xD3B24012, 0x18029D12
	;; [unrolled: 6-line block ×10, first 2 shown]
.long 0x81858105
.long 0xBF008105
	;; [unrolled: 1-line block ×5, first 2 shown]
.long 0xD3B24010, 0x18029110
.long 0xD3B24012, 0x18029512
.long 0x81858105
.long 0xBF008105
.long 0xBF850169
.long 0xBF8C0F77
.long 0xD3B24010, 0x18029910
.long 0xD3B24012, 0x18029D12
.long 0x81858105
.long 0xBF008105
.long 0xBF850161
.long 0xBF8C0F76
	;; [unrolled: 6-line block ×9, first 2 shown]
.long 0xBF8C0F77
.long 0xD3B24010, 0x18029110
.long 0xD3B24012, 0x18029512
.long 0x81858105
.long 0xBF008105
.long 0xBF850120
.long 0xBF8C0F76
.long 0xD3B24010, 0x18029910
.long 0xD3B24012, 0x18029D12
.long 0x81858105
.long 0xBF008105
.long 0xBF850118
	;; [unrolled: 6-line block ×8, first 2 shown]
.long 0xBE850032
.long 0xBF8C0F76
.long 0xD3B24010, 0x18029110
.long 0xD3B24012, 0x18029512
.long 0x81858105
.long 0xBF008105
.long 0xBF8500DF
.long 0xBF8C0F75
.long 0xD3B24010, 0x18029910
.long 0xD3B24012, 0x18029D12
.long 0x81858105
.long 0xBF008105
	;; [unrolled: 6-line block ×7, first 2 shown]
.long 0xBF8500AF
.long 0xBE850032
.long 0xBF8C0F75
.long 0xD3B24010, 0x18029110
.long 0xD3B24012, 0x18029512
.long 0x81858105
.long 0xBF008105
.long 0xBF8500A6
.long 0xBF8C0F74
.long 0xD3B24010, 0x18029910
.long 0xD3B24012, 0x18029D12
.long 0x81858105
	;; [unrolled: 6-line block ×6, first 2 shown]
.long 0xBF008105
.long 0xBF85007E
.long 0xBE850032
.long 0xBF8C0F74
.long 0xD3B24010, 0x18029110
.long 0xD3B24012, 0x18029512
.long 0x81858105
.long 0xBF008105
.long 0xBF850075
.long 0xBF8C0F73
.long 0xD3B24010, 0x18029910
.long 0xD3B24012, 0x18029D12
	;; [unrolled: 6-line block ×5, first 2 shown]
.long 0x81858105
.long 0xBF008105
	;; [unrolled: 1-line block ×5, first 2 shown]
.long 0xD3B24010, 0x18029110
.long 0xD3B24012, 0x18029512
.long 0x81858105
.long 0xBF008105
.long 0xBF85004C
.long 0xBF8C0F72
.long 0xD3B24010, 0x18029910
.long 0xD3B24012, 0x18029D12
.long 0x81858105
.long 0xBF008105
.long 0xBF850044
.long 0xBF8C0F71
	;; [unrolled: 6-line block ×4, first 2 shown]
.long 0xBF8C0F72
.long 0xD3B24010, 0x18029110
.long 0xD3B24012, 0x18029512
.long 0x81858105
.long 0xBF008105
.long 0xBF85002B
.long 0xBF8C0F71
.long 0xD3B24010, 0x18029910
.long 0xD3B24012, 0x18029D12
.long 0x81858105
.long 0xBF008105
.long 0xBF850023
	;; [unrolled: 6-line block ×3, first 2 shown]
.long 0xBE850032
.long 0xBF8C0F71
.long 0xD3B24010, 0x18029110
.long 0xD3B24012, 0x18029512
.long 0x81858105
.long 0xBF008105
	;; [unrolled: 1-line block ×4, first 2 shown]
.long 0xD3B24010, 0x18029910
.long 0xD3B24012, 0x18029D12
.long 0x81858105
.long 0xBF008105
	;; [unrolled: 1-line block ×5, first 2 shown]
.long 0xD3B24010, 0x18029110
.long 0xD3B24012, 0x18029512
.long 0x81858105
.long 0xBF008105
	;; [unrolled: 1-line block ×8, first 2 shown]
.long 0x7E0E02FF, 0xFFFF0000
.long 0x7E1002FF, 0x7FFF0000
	;; [unrolled: 1-line block ×7, first 2 shown]
.long 0x20202090
.long 0xD048003C, 0x00022311
.long 0xD1C80006, 0x02052111
	;; [unrolled: 1-line block ×9, first 2 shown]
.long 0x20242490
.long 0xD048003C, 0x00022713
.long 0xD1C80006, 0x02052113
	;; [unrolled: 1-line block ×6, first 2 shown]
.long 0xBF800000
.long 0xBF8211F1
.long 0x7E2002FF, 0x80000000
.long 0xD0C9003C, 0x00003900
	;; [unrolled: 1-line block ×3, first 2 shown]
.long 0x86C0403C
.long 0xD1FE000A, 0x020A0103
.long 0xD100000A, 0x01021510
	;; [unrolled: 1-line block ×8, first 2 shown]
.long 0xBF800001
.long 0xE07CD000, 0x80030C0A
.long 0xBF800000
.long 0x7E660546
	;; [unrolled: 1-line block ×21, first 2 shown]
.long 0xC2330CCC, 0x00000000
.long 0x9649811C
.long 0x9248811C
	;; [unrolled: 1-line block ×26, first 2 shown]
.long 0x7E2202FF, 0x80000000
.long 0xBEC80016
.long 0xBEC90017
	;; [unrolled: 1-line block ×4, first 2 shown]
.long 0xE05CD000, 0x80120C0A
.long 0xBE850032
.long 0x81858105
	;; [unrolled: 1-line block ×6, first 2 shown]
.long 0xD0C60046, 0x00000A80
.long 0xD1000012, 0x011A230A
.long 0xE05CD000, 0x80124812
.long 0x81858105
.long 0x80484448
.long 0x82494549
.long 0xBF008005
.long 0xBF85054D
.long 0xD0C60046, 0x00000A80
.long 0xD1000012, 0x011A230A
.long 0xE05CD000, 0x80124C12
.long 0x81858105
.long 0x80484448
.long 0x82494549
.long 0xBF008005
.long 0xBF850531
	;; [unrolled: 8-line block ×14, first 2 shown]
.long 0xD0C60046, 0x00000A80
.long 0xD1000012, 0x011A230A
.long 0xE05CD000, 0x80128012
.long 0xBF8C0F7E
.long 0xD3B2400C, 0x1802910C
.long 0xD3B2400E, 0x1802950E
.long 0x81858105
.long 0xBF05CE05
.long 0xBF8504BA
.long 0x80484448
.long 0x82494549
.long 0xD0C60046, 0x00000A80
.long 0xD1000012, 0x011A230A
.long 0xE05CD000, 0x80124812
.long 0xBF8C0F7E
.long 0xD3B2400C, 0x1802990C
.long 0xD3B2400E, 0x18029D0E
.long 0x81858105
.long 0xBF05CE05
.long 0xBF8504AA
.long 0x80484448
.long 0x82494549
	;; [unrolled: 11-line block ×15, first 2 shown]
.long 0xD0C60046, 0x00000A80
.long 0xD1000012, 0x011A230A
	;; [unrolled: 1-line block ×3, first 2 shown]
.long 0xBF02CE05
.long 0xBF85FF0E
.long 0xBE850032
.long 0xBF8C0F7E
.long 0xD3B2400C, 0x1802910C
.long 0xD3B2400E, 0x1802950E
.long 0x81858105
.long 0xBF008105
.long 0xBF8503C7
.long 0xBF8C0F7D
.long 0xD3B2400C, 0x1802990C
.long 0xD3B2400E, 0x18029D0E
.long 0x81858105
.long 0xBF008105
.long 0xBF8503BF
.long 0xBF8C0F7C
.long 0xD3B2400C, 0x1802A10C
.long 0xD3B2400E, 0x1802A50E
.long 0x81858105
.long 0xBF008105
.long 0xBF8503B7
.long 0xBF8C0F7B
.long 0xD3B2400C, 0x1802A90C
.long 0xD3B2400E, 0x1802AD0E
.long 0x81858105
.long 0xBF008105
.long 0xBF8503AF
.long 0xBF8C0F7A
.long 0xD3B2400C, 0x1802B10C
.long 0xD3B2400E, 0x1802B50E
.long 0x81858105
.long 0xBF008105
.long 0xBF8503A7
.long 0xBF8C0F79
.long 0xD3B2400C, 0x1802B90C
.long 0xD3B2400E, 0x1802BD0E
.long 0x81858105
.long 0xBF008105
.long 0xBF85039F
.long 0xBF8C0F78
.long 0xD3B2400C, 0x1802C10C
.long 0xD3B2400E, 0x1802C50E
.long 0x81858105
.long 0xBF008105
.long 0xBF850397
.long 0xBF8C0F77
.long 0xD3B2400C, 0x1802C90C
.long 0xD3B2400E, 0x1802CD0E
.long 0x81858105
.long 0xBF008105
.long 0xBF85038F
.long 0xBF8C0F76
.long 0xD3B2400C, 0x1802D10C
.long 0xD3B2400E, 0x1802D50E
.long 0x81858105
.long 0xBF008105
.long 0xBF850387
.long 0xBF8C0F75
.long 0xD3B2400C, 0x1802D90C
.long 0xD3B2400E, 0x1802DD0E
.long 0x81858105
.long 0xBF008105
.long 0xBF85037F
.long 0xBF8C0F74
.long 0xD3B2400C, 0x1802E10C
.long 0xD3B2400E, 0x1802E50E
.long 0x81858105
.long 0xBF008105
.long 0xBF850377
.long 0xBF8C0F73
.long 0xD3B2400C, 0x1802E90C
.long 0xD3B2400E, 0x1802ED0E
.long 0x81858105
.long 0xBF008105
.long 0xBF85036F
.long 0xBF8C0F72
.long 0xD3B2400C, 0x1802F10C
.long 0xD3B2400E, 0x1802F50E
.long 0x81858105
.long 0xBF008105
.long 0xBF850367
.long 0xBF8C0F71
.long 0xD3B2400C, 0x1802F90C
.long 0xD3B2400E, 0x1802FD0E
.long 0x81858105
.long 0xBF008105
.long 0xBF85035F
.long 0xBF8C0F70
.long 0xD3B2400C, 0x1803010C
.long 0xD3B2400E, 0x1803050E
.long 0x81858105
.long 0xBF008105
	;; [unrolled: 1-line block ×5, first 2 shown]
.long 0xD3B2400C, 0x1802910C
.long 0xD3B2400E, 0x1802950E
.long 0x81858105
.long 0xBF008105
.long 0xBF85034E
.long 0xBF8C0F7C
.long 0xD3B2400C, 0x1802990C
.long 0xD3B2400E, 0x18029D0E
.long 0x81858105
.long 0xBF008105
.long 0xBF850346
.long 0xBF8C0F7B
	;; [unrolled: 6-line block ×14, first 2 shown]
.long 0xBF8C0F7C
.long 0xD3B2400C, 0x1802910C
.long 0xD3B2400E, 0x1802950E
.long 0x81858105
.long 0xBF008105
.long 0xBF8502DD
.long 0xBF8C0F7B
.long 0xD3B2400C, 0x1802990C
.long 0xD3B2400E, 0x18029D0E
.long 0x81858105
.long 0xBF008105
.long 0xBF8502D5
	;; [unrolled: 6-line block ×13, first 2 shown]
.long 0xBE850032
.long 0xBF8C0F7B
.long 0xD3B2400C, 0x1802910C
.long 0xD3B2400E, 0x1802950E
.long 0x81858105
.long 0xBF008105
.long 0xBF850274
.long 0xBF8C0F7A
.long 0xD3B2400C, 0x1802990C
.long 0xD3B2400E, 0x18029D0E
.long 0x81858105
.long 0xBF008105
	;; [unrolled: 6-line block ×12, first 2 shown]
.long 0xBF85021C
.long 0xBE850032
.long 0xBF8C0F7A
.long 0xD3B2400C, 0x1802910C
.long 0xD3B2400E, 0x1802950E
.long 0x81858105
.long 0xBF008105
.long 0xBF850213
.long 0xBF8C0F79
.long 0xD3B2400C, 0x1802990C
.long 0xD3B2400E, 0x18029D0E
.long 0x81858105
	;; [unrolled: 6-line block ×11, first 2 shown]
.long 0xBF008105
.long 0xBF8501C3
.long 0xBE850032
.long 0xBF8C0F79
.long 0xD3B2400C, 0x1802910C
.long 0xD3B2400E, 0x1802950E
.long 0x81858105
.long 0xBF008105
.long 0xBF8501BA
.long 0xBF8C0F78
.long 0xD3B2400C, 0x1802990C
.long 0xD3B2400E, 0x18029D0E
	;; [unrolled: 6-line block ×10, first 2 shown]
.long 0x81858105
.long 0xBF008105
	;; [unrolled: 1-line block ×5, first 2 shown]
.long 0xD3B2400C, 0x1802910C
.long 0xD3B2400E, 0x1802950E
.long 0x81858105
.long 0xBF008105
.long 0xBF850169
.long 0xBF8C0F77
.long 0xD3B2400C, 0x1802990C
.long 0xD3B2400E, 0x18029D0E
.long 0x81858105
.long 0xBF008105
.long 0xBF850161
.long 0xBF8C0F76
	;; [unrolled: 6-line block ×9, first 2 shown]
.long 0xBF8C0F77
.long 0xD3B2400C, 0x1802910C
.long 0xD3B2400E, 0x1802950E
.long 0x81858105
.long 0xBF008105
.long 0xBF850120
.long 0xBF8C0F76
.long 0xD3B2400C, 0x1802990C
.long 0xD3B2400E, 0x18029D0E
.long 0x81858105
.long 0xBF008105
.long 0xBF850118
	;; [unrolled: 6-line block ×8, first 2 shown]
.long 0xBE850032
.long 0xBF8C0F76
.long 0xD3B2400C, 0x1802910C
.long 0xD3B2400E, 0x1802950E
.long 0x81858105
.long 0xBF008105
.long 0xBF8500DF
.long 0xBF8C0F75
.long 0xD3B2400C, 0x1802990C
.long 0xD3B2400E, 0x18029D0E
.long 0x81858105
.long 0xBF008105
	;; [unrolled: 6-line block ×7, first 2 shown]
.long 0xBF8500AF
.long 0xBE850032
.long 0xBF8C0F75
.long 0xD3B2400C, 0x1802910C
.long 0xD3B2400E, 0x1802950E
.long 0x81858105
.long 0xBF008105
.long 0xBF8500A6
.long 0xBF8C0F74
.long 0xD3B2400C, 0x1802990C
.long 0xD3B2400E, 0x18029D0E
.long 0x81858105
	;; [unrolled: 6-line block ×6, first 2 shown]
.long 0xBF008105
.long 0xBF85007E
.long 0xBE850032
.long 0xBF8C0F74
.long 0xD3B2400C, 0x1802910C
.long 0xD3B2400E, 0x1802950E
.long 0x81858105
.long 0xBF008105
.long 0xBF850075
.long 0xBF8C0F73
.long 0xD3B2400C, 0x1802990C
.long 0xD3B2400E, 0x18029D0E
	;; [unrolled: 6-line block ×5, first 2 shown]
.long 0x81858105
.long 0xBF008105
	;; [unrolled: 1-line block ×5, first 2 shown]
.long 0xD3B2400C, 0x1802910C
.long 0xD3B2400E, 0x1802950E
.long 0x81858105
.long 0xBF008105
.long 0xBF85004C
.long 0xBF8C0F72
.long 0xD3B2400C, 0x1802990C
.long 0xD3B2400E, 0x18029D0E
.long 0x81858105
.long 0xBF008105
.long 0xBF850044
.long 0xBF8C0F71
	;; [unrolled: 6-line block ×4, first 2 shown]
.long 0xBF8C0F72
.long 0xD3B2400C, 0x1802910C
.long 0xD3B2400E, 0x1802950E
.long 0x81858105
.long 0xBF008105
.long 0xBF85002B
.long 0xBF8C0F71
.long 0xD3B2400C, 0x1802990C
.long 0xD3B2400E, 0x18029D0E
.long 0x81858105
.long 0xBF008105
.long 0xBF850023
	;; [unrolled: 6-line block ×3, first 2 shown]
.long 0xBE850032
.long 0xBF8C0F71
.long 0xD3B2400C, 0x1802910C
.long 0xD3B2400E, 0x1802950E
.long 0x81858105
.long 0xBF008105
	;; [unrolled: 1-line block ×4, first 2 shown]
.long 0xD3B2400C, 0x1802990C
.long 0xD3B2400E, 0x18029D0E
.long 0x81858105
.long 0xBF008105
	;; [unrolled: 1-line block ×5, first 2 shown]
.long 0xD3B2400C, 0x1802910C
.long 0xD3B2400E, 0x1802950E
.long 0x81858105
.long 0xBF008105
	;; [unrolled: 1-line block ×8, first 2 shown]
.long 0x7E0E02FF, 0xFFFF0000
.long 0x7E1002FF, 0x7FFF0000
	;; [unrolled: 1-line block ×7, first 2 shown]
.long 0x20181890
.long 0xD048003C, 0x00021B0D
.long 0xD1C80006, 0x0205210D
	;; [unrolled: 1-line block ×9, first 2 shown]
.long 0x201C1C90
.long 0xD048003C, 0x00021F0F
.long 0xD1C80006, 0x0205210F
	;; [unrolled: 1-line block ×6, first 2 shown]
.long 0xBF800000
.long 0xBF820C02
	;; [unrolled: 1-line block ×14, first 2 shown]
.long 0xD1FE000C, 0x02060102
.long 0xE0541000, 0x8004100C
.long 0xD1FE000A, 0x020A0103
.long 0xD1FE000B, 0x02060103
.long 0xD3D84014, 0x18000100
.long 0xD3D84015, 0x18000101
.long 0xD3D84016, 0x18000102
.long 0xD3D84017, 0x18000103
.long 0xBF800001
.long 0xE07CD000, 0x8003140A
.long 0xBF800000
.long 0x7E660546
	;; [unrolled: 1-line block ×21, first 2 shown]
.long 0xC2330CCC, 0x00000000
.long 0x9645811C
.long 0x9244811C
	;; [unrolled: 1-line block ×26, first 2 shown]
.long 0x7E1C02FF, 0x80000000
.long 0xBEC40016
.long 0xBEC50017
	;; [unrolled: 1-line block ×4, first 2 shown]
.long 0xE05CD000, 0x8011140A
.long 0xBE850032
.long 0x81858105
	;; [unrolled: 1-line block ×6, first 2 shown]
.long 0xD0C60042, 0x00000A80
.long 0xD100000F, 0x010A1D0A
.long 0xE05CD000, 0x8011480F
.long 0x81858105
.long 0x80444044
.long 0x82454145
.long 0xBF008005
.long 0xBF85054D
.long 0xD0C60042, 0x00000A80
.long 0xD100000F, 0x010A1D0A
.long 0xE05CD000, 0x80114C0F
.long 0x81858105
.long 0x80444044
.long 0x82454145
.long 0xBF008005
.long 0xBF850531
	;; [unrolled: 8-line block ×14, first 2 shown]
.long 0xD0C60042, 0x00000A80
.long 0xD100000F, 0x010A1D0A
.long 0xE05CD000, 0x8011800F
.long 0xBF8C0F7E
.long 0xD3B24014, 0x18029114
.long 0xD3B24016, 0x18029516
.long 0x81858105
.long 0xBF05CE05
.long 0xBF8504BA
.long 0x80444044
.long 0x82454145
.long 0xD0C60042, 0x00000A80
.long 0xD100000F, 0x010A1D0A
.long 0xE05CD000, 0x8011480F
.long 0xBF8C0F7E
.long 0xD3B24014, 0x18029914
.long 0xD3B24016, 0x18029D16
.long 0x81858105
.long 0xBF05CE05
.long 0xBF8504AA
.long 0x80444044
.long 0x82454145
	;; [unrolled: 11-line block ×15, first 2 shown]
.long 0xD0C60042, 0x00000A80
.long 0xD100000F, 0x010A1D0A
	;; [unrolled: 1-line block ×3, first 2 shown]
.long 0xBF02CE05
.long 0xBF85FF0E
.long 0xBE850032
.long 0xBF8C0F7E
.long 0xD3B24014, 0x18029114
.long 0xD3B24016, 0x18029516
.long 0x81858105
.long 0xBF008105
.long 0xBF8503C7
.long 0xBF8C0F7D
.long 0xD3B24014, 0x18029914
.long 0xD3B24016, 0x18029D16
	;; [unrolled: 6-line block ×15, first 2 shown]
.long 0x81858105
.long 0xBF008105
	;; [unrolled: 1-line block ×5, first 2 shown]
.long 0xD3B24014, 0x18029114
.long 0xD3B24016, 0x18029516
.long 0x81858105
.long 0xBF008105
.long 0xBF85034E
.long 0xBF8C0F7C
.long 0xD3B24014, 0x18029914
.long 0xD3B24016, 0x18029D16
.long 0x81858105
.long 0xBF008105
.long 0xBF850346
.long 0xBF8C0F7B
	;; [unrolled: 6-line block ×14, first 2 shown]
.long 0xBF8C0F7C
.long 0xD3B24014, 0x18029114
.long 0xD3B24016, 0x18029516
.long 0x81858105
.long 0xBF008105
.long 0xBF8502DD
.long 0xBF8C0F7B
.long 0xD3B24014, 0x18029914
.long 0xD3B24016, 0x18029D16
.long 0x81858105
.long 0xBF008105
.long 0xBF8502D5
.long 0xBF8C0F7A
.long 0xD3B24014, 0x1802A114
.long 0xD3B24016, 0x1802A516
.long 0x81858105
.long 0xBF008105
.long 0xBF8502CD
.long 0xBF8C0F79
.long 0xD3B24014, 0x1802A914
.long 0xD3B24016, 0x1802AD16
.long 0x81858105
.long 0xBF008105
.long 0xBF8502C5
.long 0xBF8C0F78
.long 0xD3B24014, 0x1802B114
.long 0xD3B24016, 0x1802B516
.long 0x81858105
.long 0xBF008105
.long 0xBF8502BD
.long 0xBF8C0F77
.long 0xD3B24014, 0x1802B914
.long 0xD3B24016, 0x1802BD16
.long 0x81858105
.long 0xBF008105
.long 0xBF8502B5
.long 0xBF8C0F76
.long 0xD3B24014, 0x1802C114
.long 0xD3B24016, 0x1802C516
.long 0x81858105
.long 0xBF008105
.long 0xBF8502AD
.long 0xBF8C0F75
.long 0xD3B24014, 0x1802C914
.long 0xD3B24016, 0x1802CD16
.long 0x81858105
.long 0xBF008105
.long 0xBF8502A5
.long 0xBF8C0F74
.long 0xD3B24014, 0x1802D114
.long 0xD3B24016, 0x1802D516
.long 0x81858105
.long 0xBF008105
.long 0xBF85029D
.long 0xBF8C0F73
.long 0xD3B24014, 0x1802D914
.long 0xD3B24016, 0x1802DD16
.long 0x81858105
.long 0xBF008105
.long 0xBF850295
.long 0xBF8C0F72
.long 0xD3B24014, 0x1802E114
.long 0xD3B24016, 0x1802E516
.long 0x81858105
.long 0xBF008105
.long 0xBF85028D
.long 0xBF8C0F71
.long 0xD3B24014, 0x1802E914
.long 0xD3B24016, 0x1802ED16
.long 0x81858105
.long 0xBF008105
.long 0xBF850285
.long 0xBF8C0F70
.long 0xD3B24014, 0x1802F114
.long 0xD3B24016, 0x1802F516
.long 0x81858105
.long 0xBF008105
.long 0xBF85027D
.long 0xBE850032
.long 0xBF8C0F7B
.long 0xD3B24014, 0x18029114
.long 0xD3B24016, 0x18029516
.long 0x81858105
.long 0xBF008105
.long 0xBF850274
.long 0xBF8C0F7A
.long 0xD3B24014, 0x18029914
.long 0xD3B24016, 0x18029D16
.long 0x81858105
.long 0xBF008105
	;; [unrolled: 6-line block ×12, first 2 shown]
.long 0xBF85021C
.long 0xBE850032
.long 0xBF8C0F7A
.long 0xD3B24014, 0x18029114
.long 0xD3B24016, 0x18029516
.long 0x81858105
.long 0xBF008105
.long 0xBF850213
.long 0xBF8C0F79
.long 0xD3B24014, 0x18029914
.long 0xD3B24016, 0x18029D16
.long 0x81858105
	;; [unrolled: 6-line block ×11, first 2 shown]
.long 0xBF008105
.long 0xBF8501C3
.long 0xBE850032
.long 0xBF8C0F79
.long 0xD3B24014, 0x18029114
.long 0xD3B24016, 0x18029516
.long 0x81858105
.long 0xBF008105
.long 0xBF8501BA
.long 0xBF8C0F78
.long 0xD3B24014, 0x18029914
.long 0xD3B24016, 0x18029D16
.long 0x81858105
.long 0xBF008105
.long 0xBF8501B2
.long 0xBF8C0F77
.long 0xD3B24014, 0x1802A114
.long 0xD3B24016, 0x1802A516
.long 0x81858105
.long 0xBF008105
.long 0xBF8501AA
.long 0xBF8C0F76
.long 0xD3B24014, 0x1802A914
.long 0xD3B24016, 0x1802AD16
.long 0x81858105
.long 0xBF008105
.long 0xBF8501A2
.long 0xBF8C0F75
.long 0xD3B24014, 0x1802B114
.long 0xD3B24016, 0x1802B516
.long 0x81858105
.long 0xBF008105
.long 0xBF85019A
.long 0xBF8C0F74
.long 0xD3B24014, 0x1802B914
.long 0xD3B24016, 0x1802BD16
.long 0x81858105
.long 0xBF008105
.long 0xBF850192
.long 0xBF8C0F73
.long 0xD3B24014, 0x1802C114
.long 0xD3B24016, 0x1802C516
.long 0x81858105
.long 0xBF008105
.long 0xBF85018A
.long 0xBF8C0F72
.long 0xD3B24014, 0x1802C914
.long 0xD3B24016, 0x1802CD16
.long 0x81858105
.long 0xBF008105
.long 0xBF850182
.long 0xBF8C0F71
.long 0xD3B24014, 0x1802D114
.long 0xD3B24016, 0x1802D516
.long 0x81858105
.long 0xBF008105
.long 0xBF85017A
.long 0xBF8C0F70
.long 0xD3B24014, 0x1802D914
.long 0xD3B24016, 0x1802DD16
.long 0x81858105
.long 0xBF008105
	;; [unrolled: 1-line block ×5, first 2 shown]
.long 0xD3B24014, 0x18029114
.long 0xD3B24016, 0x18029516
.long 0x81858105
.long 0xBF008105
.long 0xBF850169
.long 0xBF8C0F77
.long 0xD3B24014, 0x18029914
.long 0xD3B24016, 0x18029D16
.long 0x81858105
.long 0xBF008105
.long 0xBF850161
.long 0xBF8C0F76
	;; [unrolled: 6-line block ×9, first 2 shown]
.long 0xBF8C0F77
.long 0xD3B24014, 0x18029114
.long 0xD3B24016, 0x18029516
.long 0x81858105
.long 0xBF008105
.long 0xBF850120
.long 0xBF8C0F76
.long 0xD3B24014, 0x18029914
.long 0xD3B24016, 0x18029D16
.long 0x81858105
.long 0xBF008105
.long 0xBF850118
	;; [unrolled: 6-line block ×8, first 2 shown]
.long 0xBE850032
.long 0xBF8C0F76
.long 0xD3B24014, 0x18029114
.long 0xD3B24016, 0x18029516
.long 0x81858105
.long 0xBF008105
.long 0xBF8500DF
.long 0xBF8C0F75
.long 0xD3B24014, 0x18029914
.long 0xD3B24016, 0x18029D16
.long 0x81858105
.long 0xBF008105
	;; [unrolled: 6-line block ×7, first 2 shown]
.long 0xBF8500AF
.long 0xBE850032
.long 0xBF8C0F75
.long 0xD3B24014, 0x18029114
.long 0xD3B24016, 0x18029516
.long 0x81858105
.long 0xBF008105
.long 0xBF8500A6
.long 0xBF8C0F74
.long 0xD3B24014, 0x18029914
.long 0xD3B24016, 0x18029D16
.long 0x81858105
	;; [unrolled: 6-line block ×6, first 2 shown]
.long 0xBF008105
.long 0xBF85007E
.long 0xBE850032
.long 0xBF8C0F74
.long 0xD3B24014, 0x18029114
.long 0xD3B24016, 0x18029516
.long 0x81858105
.long 0xBF008105
.long 0xBF850075
.long 0xBF8C0F73
.long 0xD3B24014, 0x18029914
.long 0xD3B24016, 0x18029D16
	;; [unrolled: 6-line block ×5, first 2 shown]
.long 0x81858105
.long 0xBF008105
	;; [unrolled: 1-line block ×5, first 2 shown]
.long 0xD3B24014, 0x18029114
.long 0xD3B24016, 0x18029516
.long 0x81858105
.long 0xBF008105
.long 0xBF85004C
.long 0xBF8C0F72
.long 0xD3B24014, 0x18029914
.long 0xD3B24016, 0x18029D16
.long 0x81858105
.long 0xBF008105
.long 0xBF850044
.long 0xBF8C0F71
	;; [unrolled: 6-line block ×4, first 2 shown]
.long 0xBF8C0F72
.long 0xD3B24014, 0x18029114
.long 0xD3B24016, 0x18029516
.long 0x81858105
.long 0xBF008105
.long 0xBF85002B
.long 0xBF8C0F71
.long 0xD3B24014, 0x18029914
.long 0xD3B24016, 0x18029D16
.long 0x81858105
.long 0xBF008105
.long 0xBF850023
	;; [unrolled: 6-line block ×3, first 2 shown]
.long 0xBE850032
.long 0xBF8C0F71
.long 0xD3B24014, 0x18029114
.long 0xD3B24016, 0x18029516
.long 0x81858105
.long 0xBF008105
.long 0xBF850012
.long 0xBF8C0F70
.long 0xD3B24014, 0x18029914
.long 0xD3B24016, 0x18029D16
.long 0x81858105
.long 0xBF008105
	;; [unrolled: 1-line block ×5, first 2 shown]
.long 0xD3B24014, 0x18029114
.long 0xD3B24016, 0x18029516
.long 0x81858105
.long 0xBF008105
	;; [unrolled: 1-line block ×8, first 2 shown]
.long 0x7E0E02FF, 0xFFFF0000
.long 0x7E1002FF, 0x7FFF0000
	;; [unrolled: 1-line block ×3, first 2 shown]
.long 0x24082090
.long 0xD13B0014, 0x00006304
.long 0x26080F10
.long 0xD13B0015, 0x00006304
	;; [unrolled: 2-line block ×4, first 2 shown]
.long 0xD048003C, 0x00022914
.long 0xD1C80006, 0x02052114
	;; [unrolled: 1-line block ×4, first 2 shown]
.long 0x20282890
.long 0xD048003C, 0x00022B15
.long 0xD1C80006, 0x02052115
	;; [unrolled: 1-line block ×9, first 2 shown]
.long 0x202C2C90
.long 0xD048003C, 0x00022F17
.long 0xD1C80006, 0x02052117
	;; [unrolled: 1-line block ×6, first 2 shown]
.long 0xBF800000
.long 0xBF820602
.long 0x7E2802FF, 0x80000000
.long 0xD0C9003C, 0x00003900
	;; [unrolled: 1-line block ×3, first 2 shown]
.long 0x86C0403C
.long 0xD1FE000A, 0x02060102
.long 0xD100000A, 0x01021514
	;; [unrolled: 1-line block ×11, first 2 shown]
.long 0xBF800001
.long 0xE07CD000, 0x8003100A
.long 0xBF800000
.long 0x7E660546
	;; [unrolled: 1-line block ×21, first 2 shown]
.long 0xC2330CCC, 0x00000000
.long 0x9649811C
.long 0x9248811C
	;; [unrolled: 1-line block ×26, first 2 shown]
.long 0x7E2A02FF, 0x80000000
.long 0xBEC80016
.long 0xBEC90017
.long 0xBECA000E
.long 0xBECB000F
.long 0xE05CD000, 0x8012100A
.long 0xBE850032
.long 0x81858105
	;; [unrolled: 1-line block ×6, first 2 shown]
.long 0xD0C60046, 0x00000A80
.long 0xD1000016, 0x011A2B0A
.long 0xE05CD000, 0x80124816
.long 0x81858105
.long 0x80484448
.long 0x82494549
.long 0xBF008005
.long 0xBF85054D
.long 0xD0C60046, 0x00000A80
.long 0xD1000016, 0x011A2B0A
.long 0xE05CD000, 0x80124C16
.long 0x81858105
.long 0x80484448
.long 0x82494549
.long 0xBF008005
.long 0xBF850531
	;; [unrolled: 8-line block ×14, first 2 shown]
.long 0xD0C60046, 0x00000A80
.long 0xD1000016, 0x011A2B0A
.long 0xE05CD000, 0x80128016
.long 0xBF8C0F7E
.long 0xD3B24010, 0x18029110
.long 0xD3B24012, 0x18029512
.long 0x81858105
.long 0xBF05CE05
.long 0xBF8504BA
.long 0x80484448
.long 0x82494549
.long 0xD0C60046, 0x00000A80
.long 0xD1000016, 0x011A2B0A
.long 0xE05CD000, 0x80124816
.long 0xBF8C0F7E
.long 0xD3B24010, 0x18029910
.long 0xD3B24012, 0x18029D12
.long 0x81858105
.long 0xBF05CE05
.long 0xBF8504AA
.long 0x80484448
.long 0x82494549
	;; [unrolled: 11-line block ×15, first 2 shown]
.long 0xD0C60046, 0x00000A80
.long 0xD1000016, 0x011A2B0A
	;; [unrolled: 1-line block ×3, first 2 shown]
.long 0xBF02CE05
.long 0xBF85FF0E
.long 0xBE850032
.long 0xBF8C0F7E
.long 0xD3B24010, 0x18029110
.long 0xD3B24012, 0x18029512
.long 0x81858105
.long 0xBF008105
.long 0xBF8503C7
.long 0xBF8C0F7D
.long 0xD3B24010, 0x18029910
.long 0xD3B24012, 0x18029D12
	;; [unrolled: 6-line block ×15, first 2 shown]
.long 0x81858105
.long 0xBF008105
	;; [unrolled: 1-line block ×5, first 2 shown]
.long 0xD3B24010, 0x18029110
.long 0xD3B24012, 0x18029512
.long 0x81858105
.long 0xBF008105
.long 0xBF85034E
.long 0xBF8C0F7C
.long 0xD3B24010, 0x18029910
.long 0xD3B24012, 0x18029D12
.long 0x81858105
.long 0xBF008105
.long 0xBF850346
.long 0xBF8C0F7B
	;; [unrolled: 6-line block ×14, first 2 shown]
.long 0xBF8C0F7C
.long 0xD3B24010, 0x18029110
.long 0xD3B24012, 0x18029512
.long 0x81858105
.long 0xBF008105
.long 0xBF8502DD
.long 0xBF8C0F7B
.long 0xD3B24010, 0x18029910
.long 0xD3B24012, 0x18029D12
.long 0x81858105
.long 0xBF008105
.long 0xBF8502D5
	;; [unrolled: 6-line block ×13, first 2 shown]
.long 0xBE850032
.long 0xBF8C0F7B
.long 0xD3B24010, 0x18029110
.long 0xD3B24012, 0x18029512
.long 0x81858105
.long 0xBF008105
.long 0xBF850274
.long 0xBF8C0F7A
.long 0xD3B24010, 0x18029910
.long 0xD3B24012, 0x18029D12
.long 0x81858105
.long 0xBF008105
	;; [unrolled: 6-line block ×12, first 2 shown]
.long 0xBF85021C
.long 0xBE850032
.long 0xBF8C0F7A
.long 0xD3B24010, 0x18029110
.long 0xD3B24012, 0x18029512
.long 0x81858105
.long 0xBF008105
.long 0xBF850213
.long 0xBF8C0F79
.long 0xD3B24010, 0x18029910
.long 0xD3B24012, 0x18029D12
.long 0x81858105
	;; [unrolled: 6-line block ×11, first 2 shown]
.long 0xBF008105
.long 0xBF8501C3
.long 0xBE850032
.long 0xBF8C0F79
.long 0xD3B24010, 0x18029110
.long 0xD3B24012, 0x18029512
.long 0x81858105
.long 0xBF008105
.long 0xBF8501BA
.long 0xBF8C0F78
.long 0xD3B24010, 0x18029910
.long 0xD3B24012, 0x18029D12
	;; [unrolled: 6-line block ×10, first 2 shown]
.long 0x81858105
.long 0xBF008105
	;; [unrolled: 1-line block ×5, first 2 shown]
.long 0xD3B24010, 0x18029110
.long 0xD3B24012, 0x18029512
.long 0x81858105
.long 0xBF008105
.long 0xBF850169
.long 0xBF8C0F77
.long 0xD3B24010, 0x18029910
.long 0xD3B24012, 0x18029D12
.long 0x81858105
.long 0xBF008105
.long 0xBF850161
.long 0xBF8C0F76
	;; [unrolled: 6-line block ×9, first 2 shown]
.long 0xBF8C0F77
.long 0xD3B24010, 0x18029110
.long 0xD3B24012, 0x18029512
.long 0x81858105
.long 0xBF008105
.long 0xBF850120
.long 0xBF8C0F76
.long 0xD3B24010, 0x18029910
.long 0xD3B24012, 0x18029D12
.long 0x81858105
.long 0xBF008105
.long 0xBF850118
	;; [unrolled: 6-line block ×8, first 2 shown]
.long 0xBE850032
.long 0xBF8C0F76
.long 0xD3B24010, 0x18029110
.long 0xD3B24012, 0x18029512
.long 0x81858105
.long 0xBF008105
.long 0xBF8500DF
.long 0xBF8C0F75
.long 0xD3B24010, 0x18029910
.long 0xD3B24012, 0x18029D12
.long 0x81858105
.long 0xBF008105
	;; [unrolled: 6-line block ×7, first 2 shown]
.long 0xBF8500AF
.long 0xBE850032
.long 0xBF8C0F75
.long 0xD3B24010, 0x18029110
.long 0xD3B24012, 0x18029512
.long 0x81858105
.long 0xBF008105
.long 0xBF8500A6
.long 0xBF8C0F74
.long 0xD3B24010, 0x18029910
.long 0xD3B24012, 0x18029D12
.long 0x81858105
	;; [unrolled: 6-line block ×6, first 2 shown]
.long 0xBF008105
.long 0xBF85007E
.long 0xBE850032
.long 0xBF8C0F74
.long 0xD3B24010, 0x18029110
.long 0xD3B24012, 0x18029512
.long 0x81858105
.long 0xBF008105
.long 0xBF850075
.long 0xBF8C0F73
.long 0xD3B24010, 0x18029910
.long 0xD3B24012, 0x18029D12
	;; [unrolled: 6-line block ×5, first 2 shown]
.long 0x81858105
.long 0xBF008105
.long 0xBF850055
.long 0xBE850032
.long 0xBF8C0F73
.long 0xD3B24010, 0x18029110
.long 0xD3B24012, 0x18029512
.long 0x81858105
.long 0xBF008105
.long 0xBF85004C
.long 0xBF8C0F72
.long 0xD3B24010, 0x18029910
.long 0xD3B24012, 0x18029D12
.long 0x81858105
.long 0xBF008105
.long 0xBF850044
.long 0xBF8C0F71
	;; [unrolled: 6-line block ×4, first 2 shown]
.long 0xBF8C0F72
.long 0xD3B24010, 0x18029110
.long 0xD3B24012, 0x18029512
.long 0x81858105
.long 0xBF008105
.long 0xBF85002B
.long 0xBF8C0F71
.long 0xD3B24010, 0x18029910
.long 0xD3B24012, 0x18029D12
.long 0x81858105
.long 0xBF008105
.long 0xBF850023
	;; [unrolled: 6-line block ×3, first 2 shown]
.long 0xBE850032
.long 0xBF8C0F71
.long 0xD3B24010, 0x18029110
.long 0xD3B24012, 0x18029512
.long 0x81858105
.long 0xBF008105
	;; [unrolled: 1-line block ×4, first 2 shown]
.long 0xD3B24010, 0x18029910
.long 0xD3B24012, 0x18029D12
.long 0x81858105
.long 0xBF008105
	;; [unrolled: 1-line block ×5, first 2 shown]
.long 0xD3B24010, 0x18029110
.long 0xD3B24012, 0x18029512
.long 0x81858105
.long 0xBF008105
	;; [unrolled: 1-line block ×9, first 2 shown]
.long 0x7E0E02FF, 0xFFFF0000
.long 0x7E1002FF, 0x7FFF0000
	;; [unrolled: 1-line block ×3, first 2 shown]
.long 0x24081890
.long 0xD13B0010, 0x00006304
.long 0x26080F0C
.long 0xD13B0011, 0x00006304
	;; [unrolled: 2-line block ×4, first 2 shown]
.long 0xD048003C, 0x00022110
.long 0xD1C80006, 0x02052110
	;; [unrolled: 1-line block ×4, first 2 shown]
.long 0x20202090
.long 0xD048003C, 0x00022311
.long 0xD1C80006, 0x02052111
.long 0xD1FF0006, 0x04260D11
.long 0xD1000011, 0x00F21106
.long 0xD2010010, 0x04420F11
.long 0xD048003C, 0x00022512
.long 0xD1C80006, 0x02052112
.long 0xD1FF0006, 0x04260D12
.long 0xD1000012, 0x00F21106
.long 0x20242490
.long 0xD048003C, 0x00022713
.long 0xD1C80006, 0x02052113
	;; [unrolled: 1-line block ×6, first 2 shown]
.long 0xBF800000
.long 0xBF820000
.long 0xBF810000
